;; amdgpu-corpus repo=ROCm/hip-tests kind=compiled arch=gfx1030 opt=O3
	.amdgcn_target "amdgcn-amd-amdhsa--gfx1030"
	.amdhsa_code_object_version 6
	.text
	.protected	_Z9floatMathPfS_        ; -- Begin function _Z9floatMathPfS_
	.globl	_Z9floatMathPfS_
	.p2align	8
	.type	_Z9floatMathPfS_,@function
_Z9floatMathPfS_:                       ; @_Z9floatMathPfS_
; %bb.0:
	s_clause 0x1
	s_load_dword s7, s[4:5], 0x1c
	s_load_dwordx4 s[0:3], s[4:5], 0x0
	s_waitcnt lgkmcnt(0)
	s_and_b32 s4, s7, 0xffff
	v_mad_u64_u32 v[0:1], null, s6, s4, v[0:1]
	v_ashrrev_i32_e32 v1, 31, v0
	v_lshlrev_b64 v[2:3], 2, v[0:1]
	v_add_co_u32 v0, vcc_lo, s0, v2
	v_add_co_ci_u32_e64 v1, null, s1, v3, vcc_lo
	s_mov_b32 s1, 0x3e76c4e1
	global_load_dword v4, v[0:1], off
	s_waitcnt vmcnt(0)
	v_mul_f32_e32 v4, 0.15915494, v4
	v_cos_f32_e32 v4, v4
	v_mul_f32_e32 v4, 0x40549a78, v4
	v_exp_f32_e32 v4, v4
	v_mul_f32_e32 v4, 0x3fb8aa3b, v4
	v_exp_f32_e32 v4, v4
	v_rsq_f32_e32 v4, v4
	v_cmp_gt_f32_e32 vcc_lo, 0x800000, v4
	v_cndmask_b32_e64 v5, 0, 32, vcc_lo
	v_ldexp_f32 v4, v4, v5
	v_cndmask_b32_e64 v5, 0, -16, vcc_lo
	v_sqrt_f32_e32 v4, v4
	v_ldexp_f32 v4, v4, v5
	v_cmp_gt_f32_e32 vcc_lo, 0x800000, v4
	v_cndmask_b32_e64 v5, 0, 32, vcc_lo
	v_cndmask_b32_e64 v6, 0, 0x411a209b, vcc_lo
	v_ldexp_f32 v4, v4, v5
	v_log_f32_e32 v4, v4
	v_mul_f32_e32 v5, 0x3e9a209a, v4
	v_cmp_gt_f32_e64 vcc_lo, 0x7f800000, |v4|
	v_fma_f32 v5, 0x3e9a209a, v4, -v5
	v_fmamk_f32 v5, v4, 0x3284fbcf, v5
	v_fmac_f32_e32 v5, 0x3e9a209a, v4
	v_cndmask_b32_e32 v4, v4, v5, vcc_lo
	v_sub_f32_e32 v4, v4, v6
	v_log_f32_e32 v4, v4
	v_cmp_gt_f32_e32 vcc_lo, 0x800000, v4
	v_cndmask_b32_e64 v5, 0, 32, vcc_lo
	v_cndmask_b32_e64 v6, 0, 0x41b17218, vcc_lo
	v_ldexp_f32 v4, v4, v5
	v_log_f32_e32 v4, v4
	v_mul_f32_e32 v5, 0x3f317217, v4
	v_cmp_gt_f32_e64 vcc_lo, 0x7f800000, |v4|
	v_fma_f32 v5, 0x3f317217, v4, -v5
	v_fmamk_f32 v5, v4, 0x3377d1cf, v5
	v_fmac_f32_e32 v5, 0x3f317217, v4
	v_cndmask_b32_e32 v4, v4, v5, vcc_lo
	v_sub_f32_e32 v6, v4, v6
	v_cmp_eq_f32_e32 vcc_lo, 0, v6
	v_cndmask_b32_e64 v4, 2.0, 1.0, vcc_lo
	v_frexp_mant_f32_e32 v5, v4
	v_cmp_gt_f32_e64 s0, 0x3f2aaaab, v5
	v_cndmask_b32_e64 v7, 1.0, 2.0, s0
	v_mul_f32_e32 v5, v5, v7
	v_add_f32_e32 v7, 1.0, v5
	v_add_f32_e32 v9, -1.0, v5
	v_rcp_f32_e32 v8, v7
	v_add_f32_e32 v11, -1.0, v7
	v_sub_f32_e32 v5, v5, v11
	v_mul_f32_e32 v10, v9, v8
	v_mul_f32_e32 v12, v7, v10
	v_fma_f32 v7, v10, v7, -v12
	v_fmac_f32_e32 v7, v10, v5
	v_add_f32_e32 v5, v12, v7
	v_sub_f32_e32 v11, v9, v5
	v_sub_f32_e32 v12, v5, v12
	;; [unrolled: 1-line block ×5, first 2 shown]
	v_add_f32_e32 v5, v7, v5
	v_add_f32_e32 v5, v11, v5
	v_mul_f32_e32 v5, v8, v5
	v_add_f32_e32 v7, v10, v5
	v_sub_f32_e32 v8, v7, v10
	v_mul_f32_e32 v9, v7, v7
	v_sub_f32_e32 v8, v5, v8
	v_fma_f32 v5, v7, v7, -v9
	v_add_f32_e32 v10, v8, v8
	v_fmac_f32_e32 v5, v7, v10
	v_add_f32_e32 v10, v9, v5
	v_fmaak_f32 v11, s1, v10, 0x3e91f4c4
	v_sub_f32_e32 v9, v10, v9
	v_mul_f32_e32 v15, v7, v10
	v_fmaak_f32 v11, v10, v11, 0x3ecccdef
	v_sub_f32_e32 v9, v5, v9
	v_cvt_f64_f32_e32 v[4:5], v4
	v_fma_f32 v16, v10, v7, -v15
	v_mul_f32_e32 v12, v10, v11
	v_fmac_f32_e32 v16, v10, v8
	v_ldexp_f32 v8, v8, 1
	v_fma_f32 v13, v10, v11, -v12
	v_fmac_f32_e32 v16, v9, v7
	v_fmac_f32_e32 v13, v9, v11
	v_add_f32_e32 v11, v12, v13
	v_frexp_exp_i32_f64_e32 v4, v[4:5]
	v_sub_f32_e32 v12, v11, v12
	v_add_f32_e32 v14, 0x3f2aaaaa, v11
	v_sub_f32_e32 v12, v13, v12
	v_add_f32_e32 v13, 0xbf2aaaaa, v14
	v_add_f32_e32 v12, 0x31739010, v12
	v_sub_f32_e32 v11, v11, v13
	v_add_f32_e32 v10, v12, v11
	v_add_f32_e32 v11, v15, v16
	v_subrev_co_ci_u32_e64 v4, null, 0, v4, s0
	v_add_f32_e32 v9, v14, v10
	v_sub_f32_e32 v13, v11, v15
	v_cvt_f32_i32_e32 v4, v4
	v_sub_f32_e32 v5, v14, v9
	v_mul_f32_e32 v12, v11, v9
	v_sub_f32_e32 v13, v16, v13
	v_add_f32_e32 v5, v10, v5
	v_fma_f32 v10, v11, v9, -v12
	v_fmac_f32_e32 v10, v11, v5
	v_ldexp_f32 v5, v7, 1
	v_fmac_f32_e32 v10, v13, v9
	v_add_f32_e32 v7, v12, v10
	v_add_f32_e32 v9, v5, v7
	v_sub_f32_e32 v11, v7, v12
	v_mul_f32_e32 v12, 0x3f317218, v4
	v_sub_f32_e32 v5, v9, v5
	v_sub_f32_e32 v10, v10, v11
	v_fma_f32 v11, 0x3f317218, v4, -v12
	v_sub_f32_e32 v5, v7, v5
	v_add_f32_e32 v7, v8, v10
	v_fmamk_f32 v4, v4, 0xb102e308, v11
	v_add_f32_e32 v5, v7, v5
	v_add_f32_e32 v7, v12, v4
	;; [unrolled: 1-line block ×3, first 2 shown]
	v_sub_f32_e32 v12, v7, v12
	v_add_f32_e32 v10, v7, v8
	v_sub_f32_e32 v9, v8, v9
	v_sub_f32_e32 v4, v4, v12
	;; [unrolled: 1-line block ×6, first 2 shown]
	v_add_f32_e32 v9, v4, v5
	v_sub_f32_e32 v7, v7, v13
	v_add_f32_e32 v7, v8, v7
	v_sub_f32_e32 v8, v9, v4
	;; [unrolled: 2-line block ×3, first 2 shown]
	v_sub_f32_e32 v5, v5, v8
	v_add_f32_e32 v11, v10, v7
	v_sub_f32_e32 v4, v4, v9
	v_sub_f32_e32 v8, v11, v10
	v_add_f32_e32 v4, v5, v4
	v_sub_f32_e32 v5, v7, v8
	v_add_f32_e32 v4, v4, v5
	v_add_f32_e32 v5, v11, v4
	v_sub_f32_e32 v7, v5, v11
	v_mul_f32_e32 v8, v6, v5
	v_sub_f32_e32 v4, v4, v7
	v_fma_f32 v5, v6, v5, -v8
	v_cmp_class_f32_e64 s0, v8, 0x204
	v_fmac_f32_e32 v5, v6, v4
	v_add_f32_e32 v4, v8, v5
	v_cndmask_b32_e64 v7, v4, v8, s0
	v_sub_f32_e32 v4, v4, v8
	v_cmp_eq_f32_e64 s0, 0x42b17218, v7
	v_sub_f32_e32 v4, v5, v4
	v_cndmask_b32_e64 v9, 0, 0x37000000, s0
	v_cmp_neq_f32_e64 s0, 0x7f800000, |v7|
	v_sub_f32_e32 v10, v7, v9
	v_cndmask_b32_e64 v4, 0, v4, s0
	v_mul_f32_e32 v11, 0x3fb8aa3b, v10
	v_cmp_ngt_f32_e64 s0, 0xc2ce8ed0, v10
	v_add_f32_e32 v4, v9, v4
	v_fma_f32 v12, 0x3fb8aa3b, v10, -v11
	v_rndne_f32_e32 v13, v11
	v_fmamk_f32 v12, v10, 0x32a5705f, v12
	v_sub_f32_e32 v11, v11, v13
	v_cvt_i32_f32_e32 v8, v13
	v_add_f32_e32 v11, v11, v12
	v_exp_f32_e32 v11, v11
	v_ldexp_f32 v5, v11, v8
	v_cndmask_b32_e64 v5, 0, v5, s0
	v_cmp_nlt_f32_e64 s0, 0x42b17218, v10
	v_cndmask_b32_e64 v5, 0x7f800000, v5, s0
	v_cmp_neq_f32_e64 s0, v6, |v6|
	v_fma_f32 v4, v5, v4, v5
	v_cndmask_b32_e64 v7, 0x7f800000, 0, s0
	v_cmp_class_f32_e64 s0, v5, 0x204
	v_cndmask_b32_e64 v4, v4, v5, s0
	v_cndmask_b32_e64 v5, v7, 1.0, vcc_lo
	v_cmp_class_f32_e64 s0, v6, 0x204
	v_cmp_o_f32_e32 vcc_lo, v6, v6
	v_cndmask_b32_e64 v4, |v4|, v5, s0
	v_cndmask_b32_e32 v4, 0x7fc00000, v4, vcc_lo
	v_add_co_u32 v2, vcc_lo, s2, v2
	v_add_co_ci_u32_e64 v3, null, s3, v3, vcc_lo
	v_mul_f32_e32 v4, 0.15915494, v4
	v_cos_f32_e32 v5, v4
	v_sin_f32_e32 v4, v4
	v_mul_f32_e32 v5, 0.15915494, v5
	v_sin_f32_e32 v5, v5
	v_mul_f32_e32 v5, 0.15915494, v5
	v_cos_f32_e32 v5, v5
	v_mul_f32_e32 v5, 0.15915494, v5
	v_cos_f32_e32 v6, v5
	v_sin_f32_e32 v5, v5
	v_rcp_f32_e32 v6, v6
	v_mul_f32_e32 v5, v5, v6
	global_store_dword v[0:1], v4, off
	global_store_dword v[2:3], v5, off
	s_endpgm
	.section	.rodata,"a",@progbits
	.p2align	6, 0x0
	.amdhsa_kernel _Z9floatMathPfS_
		.amdhsa_group_segment_fixed_size 0
		.amdhsa_private_segment_fixed_size 0
		.amdhsa_kernarg_size 272
		.amdhsa_user_sgpr_count 6
		.amdhsa_user_sgpr_private_segment_buffer 1
		.amdhsa_user_sgpr_dispatch_ptr 0
		.amdhsa_user_sgpr_queue_ptr 0
		.amdhsa_user_sgpr_kernarg_segment_ptr 1
		.amdhsa_user_sgpr_dispatch_id 0
		.amdhsa_user_sgpr_flat_scratch_init 0
		.amdhsa_user_sgpr_private_segment_size 0
		.amdhsa_wavefront_size32 1
		.amdhsa_uses_dynamic_stack 0
		.amdhsa_system_sgpr_private_segment_wavefront_offset 0
		.amdhsa_system_sgpr_workgroup_id_x 1
		.amdhsa_system_sgpr_workgroup_id_y 0
		.amdhsa_system_sgpr_workgroup_id_z 0
		.amdhsa_system_sgpr_workgroup_info 0
		.amdhsa_system_vgpr_workitem_id 0
		.amdhsa_next_free_vgpr 17
		.amdhsa_next_free_sgpr 8
		.amdhsa_reserve_vcc 1
		.amdhsa_reserve_flat_scratch 0
		.amdhsa_float_round_mode_32 0
		.amdhsa_float_round_mode_16_64 0
		.amdhsa_float_denorm_mode_32 3
		.amdhsa_float_denorm_mode_16_64 3
		.amdhsa_dx10_clamp 1
		.amdhsa_ieee_mode 1
		.amdhsa_fp16_overflow 0
		.amdhsa_workgroup_processor_mode 1
		.amdhsa_memory_ordered 1
		.amdhsa_forward_progress 1
		.amdhsa_shared_vgpr_count 0
		.amdhsa_exception_fp_ieee_invalid_op 0
		.amdhsa_exception_fp_denorm_src 0
		.amdhsa_exception_fp_ieee_div_zero 0
		.amdhsa_exception_fp_ieee_overflow 0
		.amdhsa_exception_fp_ieee_underflow 0
		.amdhsa_exception_fp_ieee_inexact 0
		.amdhsa_exception_int_div_zero 0
	.end_amdhsa_kernel
	.text
.Lfunc_end0:
	.size	_Z9floatMathPfS_, .Lfunc_end0-_Z9floatMathPfS_
                                        ; -- End function
	.set _Z9floatMathPfS_.num_vgpr, 17
	.set _Z9floatMathPfS_.num_agpr, 0
	.set _Z9floatMathPfS_.numbered_sgpr, 8
	.set _Z9floatMathPfS_.num_named_barrier, 0
	.set _Z9floatMathPfS_.private_seg_size, 0
	.set _Z9floatMathPfS_.uses_vcc, 1
	.set _Z9floatMathPfS_.uses_flat_scratch, 0
	.set _Z9floatMathPfS_.has_dyn_sized_stack, 0
	.set _Z9floatMathPfS_.has_recursion, 0
	.set _Z9floatMathPfS_.has_indirect_call, 0
	.section	.AMDGPU.csdata,"",@progbits
; Kernel info:
; codeLenInByte = 1236
; TotalNumSgprs: 10
; NumVgprs: 17
; ScratchSize: 0
; MemoryBound: 0
; FloatMode: 240
; IeeeMode: 1
; LDSByteSize: 0 bytes/workgroup (compile time only)
; SGPRBlocks: 0
; VGPRBlocks: 2
; NumSGPRsForWavesPerEU: 10
; NumVGPRsForWavesPerEU: 17
; Occupancy: 16
; WaveLimiterHint : 0
; COMPUTE_PGM_RSRC2:SCRATCH_EN: 0
; COMPUTE_PGM_RSRC2:USER_SGPR: 6
; COMPUTE_PGM_RSRC2:TRAP_HANDLER: 0
; COMPUTE_PGM_RSRC2:TGID_X_EN: 1
; COMPUTE_PGM_RSRC2:TGID_Y_EN: 0
; COMPUTE_PGM_RSRC2:TGID_Z_EN: 0
; COMPUTE_PGM_RSRC2:TIDIG_COMP_CNT: 0
	.text
	.p2alignl 6, 3214868480
	.fill 48, 4, 3214868480
	.section	.AMDGPU.gpr_maximums,"",@progbits
	.set amdgpu.max_num_vgpr, 0
	.set amdgpu.max_num_agpr, 0
	.set amdgpu.max_num_sgpr, 0
	.text
	.type	__hip_cuid_1f94ad89debb0839,@object ; @__hip_cuid_1f94ad89debb0839
	.section	.bss,"aw",@nobits
	.globl	__hip_cuid_1f94ad89debb0839
__hip_cuid_1f94ad89debb0839:
	.byte	0                               ; 0x0
	.size	__hip_cuid_1f94ad89debb0839, 1

	.ident	"AMD clang version 22.0.0git (https://github.com/RadeonOpenCompute/llvm-project roc-7.2.4 26084 f58b06dce1f9c15707c5f808fd002e18c2accf7e)"
	.section	".note.GNU-stack","",@progbits
	.addrsig
	.addrsig_sym __hip_cuid_1f94ad89debb0839
	.amdgpu_metadata
---
amdhsa.kernels:
  - .args:
      - .address_space:  global
        .offset:         0
        .size:           8
        .value_kind:     global_buffer
      - .address_space:  global
        .offset:         8
        .size:           8
        .value_kind:     global_buffer
      - .offset:         16
        .size:           4
        .value_kind:     hidden_block_count_x
      - .offset:         20
        .size:           4
        .value_kind:     hidden_block_count_y
      - .offset:         24
        .size:           4
        .value_kind:     hidden_block_count_z
      - .offset:         28
        .size:           2
        .value_kind:     hidden_group_size_x
      - .offset:         30
        .size:           2
        .value_kind:     hidden_group_size_y
      - .offset:         32
        .size:           2
        .value_kind:     hidden_group_size_z
      - .offset:         34
        .size:           2
        .value_kind:     hidden_remainder_x
      - .offset:         36
        .size:           2
        .value_kind:     hidden_remainder_y
      - .offset:         38
        .size:           2
        .value_kind:     hidden_remainder_z
      - .offset:         56
        .size:           8
        .value_kind:     hidden_global_offset_x
      - .offset:         64
        .size:           8
        .value_kind:     hidden_global_offset_y
      - .offset:         72
        .size:           8
        .value_kind:     hidden_global_offset_z
      - .offset:         80
        .size:           2
        .value_kind:     hidden_grid_dims
    .group_segment_fixed_size: 0
    .kernarg_segment_align: 8
    .kernarg_segment_size: 272
    .language:       OpenCL C
    .language_version:
      - 2
      - 0
    .max_flat_workgroup_size: 1024
    .name:           _Z9floatMathPfS_
    .private_segment_fixed_size: 0
    .sgpr_count:     10
    .sgpr_spill_count: 0
    .symbol:         _Z9floatMathPfS_.kd
    .uniform_work_group_size: 1
    .uses_dynamic_stack: false
    .vgpr_count:     17
    .vgpr_spill_count: 0
    .wavefront_size: 32
    .workgroup_processor_mode: 1
amdhsa.target:   amdgcn-amd-amdhsa--gfx1030
amdhsa.version:
  - 1
  - 2
...

	.end_amdgpu_metadata
